;; amdgpu-corpus repo=ROCm/rocFFT kind=compiled arch=gfx906 opt=O3
	.text
	.amdgcn_target "amdgcn-amd-amdhsa--gfx906"
	.amdhsa_code_object_version 6
	.protected	fft_rtc_fwd_len320_factors_10_4_4_2_wgs_64_tpt_16_halfLds_sp_op_CI_CI_unitstride_sbrr_C2R_dirReg ; -- Begin function fft_rtc_fwd_len320_factors_10_4_4_2_wgs_64_tpt_16_halfLds_sp_op_CI_CI_unitstride_sbrr_C2R_dirReg
	.globl	fft_rtc_fwd_len320_factors_10_4_4_2_wgs_64_tpt_16_halfLds_sp_op_CI_CI_unitstride_sbrr_C2R_dirReg
	.p2align	8
	.type	fft_rtc_fwd_len320_factors_10_4_4_2_wgs_64_tpt_16_halfLds_sp_op_CI_CI_unitstride_sbrr_C2R_dirReg,@function
fft_rtc_fwd_len320_factors_10_4_4_2_wgs_64_tpt_16_halfLds_sp_op_CI_CI_unitstride_sbrr_C2R_dirReg: ; @fft_rtc_fwd_len320_factors_10_4_4_2_wgs_64_tpt_16_halfLds_sp_op_CI_CI_unitstride_sbrr_C2R_dirReg
; %bb.0:
	s_load_dwordx4 s[8:11], s[4:5], 0x58
	s_load_dwordx4 s[12:15], s[4:5], 0x0
	;; [unrolled: 1-line block ×3, first 2 shown]
	v_lshrrev_b32_e32 v7, 4, v0
	v_mov_b32_e32 v3, 0
	v_mov_b32_e32 v1, 0
	s_waitcnt lgkmcnt(0)
	v_cmp_lt_u64_e64 s[0:1], s[14:15], 2
	v_lshl_or_b32 v5, s6, 2, v7
	v_mov_b32_e32 v6, v3
	s_and_b64 vcc, exec, s[0:1]
	v_mov_b32_e32 v2, 0
	s_cbranch_vccnz .LBB0_8
; %bb.1:
	s_load_dwordx2 s[0:1], s[4:5], 0x10
	s_add_u32 s2, s18, 8
	s_addc_u32 s3, s19, 0
	s_add_u32 s6, s16, 8
	v_mov_b32_e32 v1, 0
	s_addc_u32 s7, s17, 0
	v_mov_b32_e32 v2, 0
	s_waitcnt lgkmcnt(0)
	s_add_u32 s20, s0, 8
	v_mov_b32_e32 v37, v2
	s_addc_u32 s21, s1, 0
	s_mov_b64 s[22:23], 1
	v_mov_b32_e32 v36, v1
.LBB0_2:                                ; =>This Inner Loop Header: Depth=1
	s_load_dwordx2 s[24:25], s[20:21], 0x0
                                        ; implicit-def: $vgpr40_vgpr41
	s_waitcnt lgkmcnt(0)
	v_or_b32_e32 v4, s25, v6
	v_cmp_ne_u64_e32 vcc, 0, v[3:4]
	s_and_saveexec_b64 s[0:1], vcc
	s_xor_b64 s[26:27], exec, s[0:1]
	s_cbranch_execz .LBB0_4
; %bb.3:                                ;   in Loop: Header=BB0_2 Depth=1
	v_cvt_f32_u32_e32 v4, s24
	v_cvt_f32_u32_e32 v8, s25
	s_sub_u32 s0, 0, s24
	s_subb_u32 s1, 0, s25
	v_mac_f32_e32 v4, 0x4f800000, v8
	v_rcp_f32_e32 v4, v4
	v_mul_f32_e32 v4, 0x5f7ffffc, v4
	v_mul_f32_e32 v8, 0x2f800000, v4
	v_trunc_f32_e32 v8, v8
	v_mac_f32_e32 v4, 0xcf800000, v8
	v_cvt_u32_f32_e32 v8, v8
	v_cvt_u32_f32_e32 v4, v4
	v_mul_lo_u32 v9, s0, v8
	v_mul_hi_u32 v10, s0, v4
	v_mul_lo_u32 v12, s1, v4
	v_mul_lo_u32 v11, s0, v4
	v_add_u32_e32 v9, v10, v9
	v_add_u32_e32 v9, v9, v12
	v_mul_hi_u32 v10, v4, v11
	v_mul_lo_u32 v12, v4, v9
	v_mul_hi_u32 v14, v4, v9
	v_mul_hi_u32 v13, v8, v11
	v_mul_lo_u32 v11, v8, v11
	v_mul_hi_u32 v15, v8, v9
	v_add_co_u32_e32 v10, vcc, v10, v12
	v_addc_co_u32_e32 v12, vcc, 0, v14, vcc
	v_mul_lo_u32 v9, v8, v9
	v_add_co_u32_e32 v10, vcc, v10, v11
	v_addc_co_u32_e32 v10, vcc, v12, v13, vcc
	v_addc_co_u32_e32 v11, vcc, 0, v15, vcc
	v_add_co_u32_e32 v9, vcc, v10, v9
	v_addc_co_u32_e32 v10, vcc, 0, v11, vcc
	v_add_co_u32_e32 v4, vcc, v4, v9
	v_addc_co_u32_e32 v8, vcc, v8, v10, vcc
	v_mul_lo_u32 v9, s0, v8
	v_mul_hi_u32 v10, s0, v4
	v_mul_lo_u32 v11, s1, v4
	v_mul_lo_u32 v12, s0, v4
	v_add_u32_e32 v9, v10, v9
	v_add_u32_e32 v9, v9, v11
	v_mul_lo_u32 v13, v4, v9
	v_mul_hi_u32 v14, v4, v12
	v_mul_hi_u32 v15, v4, v9
	v_mul_hi_u32 v11, v8, v12
	v_mul_lo_u32 v12, v8, v12
	v_mul_hi_u32 v10, v8, v9
	v_add_co_u32_e32 v13, vcc, v14, v13
	v_addc_co_u32_e32 v14, vcc, 0, v15, vcc
	v_mul_lo_u32 v9, v8, v9
	v_add_co_u32_e32 v12, vcc, v13, v12
	v_addc_co_u32_e32 v11, vcc, v14, v11, vcc
	v_addc_co_u32_e32 v10, vcc, 0, v10, vcc
	v_add_co_u32_e32 v9, vcc, v11, v9
	v_addc_co_u32_e32 v10, vcc, 0, v10, vcc
	v_add_co_u32_e32 v4, vcc, v4, v9
	v_addc_co_u32_e32 v10, vcc, v8, v10, vcc
	v_mad_u64_u32 v[8:9], s[0:1], v5, v10, 0
	v_mul_hi_u32 v11, v5, v4
	v_add_co_u32_e32 v12, vcc, v11, v8
	v_addc_co_u32_e32 v13, vcc, 0, v9, vcc
	v_mad_u64_u32 v[8:9], s[0:1], v6, v4, 0
	v_mad_u64_u32 v[10:11], s[0:1], v6, v10, 0
	v_add_co_u32_e32 v4, vcc, v12, v8
	v_addc_co_u32_e32 v4, vcc, v13, v9, vcc
	v_addc_co_u32_e32 v8, vcc, 0, v11, vcc
	v_add_co_u32_e32 v4, vcc, v4, v10
	v_addc_co_u32_e32 v10, vcc, 0, v8, vcc
	v_mul_lo_u32 v11, s25, v4
	v_mul_lo_u32 v12, s24, v10
	v_mad_u64_u32 v[8:9], s[0:1], s24, v4, 0
	v_add3_u32 v9, v9, v12, v11
	v_sub_u32_e32 v11, v6, v9
	v_mov_b32_e32 v12, s25
	v_sub_co_u32_e32 v8, vcc, v5, v8
	v_subb_co_u32_e64 v11, s[0:1], v11, v12, vcc
	v_subrev_co_u32_e64 v12, s[0:1], s24, v8
	v_subbrev_co_u32_e64 v11, s[0:1], 0, v11, s[0:1]
	v_cmp_le_u32_e64 s[0:1], s25, v11
	v_cndmask_b32_e64 v13, 0, -1, s[0:1]
	v_cmp_le_u32_e64 s[0:1], s24, v12
	v_cndmask_b32_e64 v12, 0, -1, s[0:1]
	v_cmp_eq_u32_e64 s[0:1], s25, v11
	v_cndmask_b32_e64 v11, v13, v12, s[0:1]
	v_add_co_u32_e64 v12, s[0:1], 2, v4
	v_addc_co_u32_e64 v13, s[0:1], 0, v10, s[0:1]
	v_add_co_u32_e64 v14, s[0:1], 1, v4
	v_addc_co_u32_e64 v15, s[0:1], 0, v10, s[0:1]
	v_subb_co_u32_e32 v9, vcc, v6, v9, vcc
	v_cmp_ne_u32_e64 s[0:1], 0, v11
	v_cmp_le_u32_e32 vcc, s25, v9
	v_cndmask_b32_e64 v11, v15, v13, s[0:1]
	v_cndmask_b32_e64 v13, 0, -1, vcc
	v_cmp_le_u32_e32 vcc, s24, v8
	v_cndmask_b32_e64 v8, 0, -1, vcc
	v_cmp_eq_u32_e32 vcc, s25, v9
	v_cndmask_b32_e32 v8, v13, v8, vcc
	v_cmp_ne_u32_e32 vcc, 0, v8
	v_cndmask_b32_e64 v8, v14, v12, s[0:1]
	v_cndmask_b32_e32 v41, v10, v11, vcc
	v_cndmask_b32_e32 v40, v4, v8, vcc
.LBB0_4:                                ;   in Loop: Header=BB0_2 Depth=1
	s_andn2_saveexec_b64 s[0:1], s[26:27]
	s_cbranch_execz .LBB0_6
; %bb.5:                                ;   in Loop: Header=BB0_2 Depth=1
	v_cvt_f32_u32_e32 v4, s24
	s_sub_i32 s26, 0, s24
	v_mov_b32_e32 v41, v3
	v_rcp_iflag_f32_e32 v4, v4
	v_mul_f32_e32 v4, 0x4f7ffffe, v4
	v_cvt_u32_f32_e32 v4, v4
	v_mul_lo_u32 v8, s26, v4
	v_mul_hi_u32 v8, v4, v8
	v_add_u32_e32 v4, v4, v8
	v_mul_hi_u32 v4, v5, v4
	v_mul_lo_u32 v8, v4, s24
	v_add_u32_e32 v9, 1, v4
	v_sub_u32_e32 v8, v5, v8
	v_subrev_u32_e32 v10, s24, v8
	v_cmp_le_u32_e32 vcc, s24, v8
	v_cndmask_b32_e32 v8, v8, v10, vcc
	v_cndmask_b32_e32 v4, v4, v9, vcc
	v_add_u32_e32 v9, 1, v4
	v_cmp_le_u32_e32 vcc, s24, v8
	v_cndmask_b32_e32 v40, v4, v9, vcc
.LBB0_6:                                ;   in Loop: Header=BB0_2 Depth=1
	s_or_b64 exec, exec, s[0:1]
	v_mul_lo_u32 v4, v41, s24
	v_mul_lo_u32 v10, v40, s25
	v_mad_u64_u32 v[8:9], s[0:1], v40, s24, 0
	s_load_dwordx2 s[0:1], s[6:7], 0x0
	s_load_dwordx2 s[24:25], s[2:3], 0x0
	v_add3_u32 v4, v9, v10, v4
	v_sub_co_u32_e32 v5, vcc, v5, v8
	v_subb_co_u32_e32 v4, vcc, v6, v4, vcc
	s_waitcnt lgkmcnt(0)
	v_mul_lo_u32 v6, s0, v4
	v_mul_lo_u32 v8, s1, v5
	v_mad_u64_u32 v[1:2], s[0:1], s0, v5, v[1:2]
	v_mul_lo_u32 v4, s24, v4
	v_mul_lo_u32 v9, s25, v5
	v_mad_u64_u32 v[36:37], s[0:1], s24, v5, v[36:37]
	s_add_u32 s22, s22, 1
	s_addc_u32 s23, s23, 0
	s_add_u32 s2, s2, 8
	v_add3_u32 v37, v9, v37, v4
	s_addc_u32 s3, s3, 0
	v_mov_b32_e32 v4, s14
	s_add_u32 s6, s6, 8
	v_mov_b32_e32 v5, s15
	s_addc_u32 s7, s7, 0
	v_cmp_ge_u64_e32 vcc, s[22:23], v[4:5]
	s_add_u32 s20, s20, 8
	v_add3_u32 v2, v8, v2, v6
	s_addc_u32 s21, s21, 0
	s_cbranch_vccnz .LBB0_9
; %bb.7:                                ;   in Loop: Header=BB0_2 Depth=1
	v_mov_b32_e32 v5, v40
	v_mov_b32_e32 v6, v41
	s_branch .LBB0_2
.LBB0_8:
	v_mov_b32_e32 v37, v2
	v_mov_b32_e32 v41, v6
	;; [unrolled: 1-line block ×4, first 2 shown]
.LBB0_9:
	s_load_dwordx2 s[0:1], s[4:5], 0x28
	s_lshl_b64 s[6:7], s[14:15], 3
	s_add_u32 s2, s18, s6
	s_addc_u32 s3, s19, s7
	v_and_b32_e32 v38, 15, v0
	s_waitcnt lgkmcnt(0)
	v_cmp_gt_u64_e32 vcc, s[0:1], v[40:41]
	v_cmp_le_u64_e64 s[0:1], s[0:1], v[40:41]
                                        ; implicit-def: $vgpr3_vgpr4
	s_and_saveexec_b64 s[4:5], s[0:1]
	s_xor_b64 s[0:1], exec, s[4:5]
; %bb.10:
	v_and_b32_e32 v38, 15, v0
	v_mov_b32_e32 v39, 0
	v_mov_b32_e32 v3, v38
	;; [unrolled: 1-line block ×3, first 2 shown]
                                        ; implicit-def: $vgpr1_vgpr2
; %bb.11:
	s_or_saveexec_b64 s[4:5], s[0:1]
	s_load_dwordx2 s[2:3], s[2:3], 0x0
	v_mul_u32_u24_e32 v5, 0x141, v7
	v_lshlrev_b32_e32 v53, 3, v5
                                        ; implicit-def: $vgpr42
	s_xor_b64 exec, exec, s[4:5]
	s_cbranch_execz .LBB0_15
; %bb.12:
	s_add_u32 s0, s16, s6
	s_addc_u32 s1, s17, s7
	s_load_dwordx2 s[0:1], s[0:1], 0x0
	v_lshlrev_b64 v[0:1], 3, v[1:2]
	v_mov_b32_e32 v8, s9
	v_mov_b32_e32 v39, 0
	s_waitcnt lgkmcnt(0)
	v_mul_lo_u32 v6, s1, v40
	v_mul_lo_u32 v7, s0, v41
	v_mad_u64_u32 v[3:4], s[0:1], s0, v40, 0
	v_add3_u32 v4, v4, v7, v6
	v_lshlrev_b64 v[2:3], 3, v[3:4]
	v_lshlrev_b32_e32 v4, 3, v38
	v_add_co_u32_e64 v2, s[0:1], s8, v2
	v_addc_co_u32_e64 v3, s[0:1], v8, v3, s[0:1]
	v_add_co_u32_e64 v0, s[0:1], v2, v0
	v_addc_co_u32_e64 v1, s[0:1], v3, v1, s[0:1]
	;; [unrolled: 2-line block ×3, first 2 shown]
	global_load_dwordx2 v[6:7], v[2:3], off
	global_load_dwordx2 v[8:9], v[2:3], off offset:128
	global_load_dwordx2 v[10:11], v[2:3], off offset:256
	;; [unrolled: 1-line block ×19, first 2 shown]
	v_add3_u32 v2, 0, v53, v4
	v_add_u32_e32 v3, 0x800, v2
	v_cmp_eq_u32_e64 s[0:1], 15, v38
	s_waitcnt vmcnt(18)
	ds_write2_b64 v2, v[6:7], v[8:9] offset1:16
	s_waitcnt vmcnt(16)
	ds_write2_b64 v2, v[10:11], v[12:13] offset0:32 offset1:48
	s_waitcnt vmcnt(14)
	ds_write2_b64 v2, v[14:15], v[16:17] offset0:64 offset1:80
	s_waitcnt vmcnt(12)
	ds_write2_b64 v2, v[18:19], v[20:21] offset0:96 offset1:112
	s_waitcnt vmcnt(10)
	ds_write2_b64 v2, v[22:23], v[24:25] offset0:128 offset1:144
	s_waitcnt vmcnt(8)
	ds_write2_b64 v2, v[26:27], v[28:29] offset0:160 offset1:176
	s_waitcnt vmcnt(6)
	ds_write2_b64 v2, v[30:31], v[32:33] offset0:192 offset1:208
	s_waitcnt vmcnt(4)
	ds_write2_b64 v2, v[34:35], v[42:43] offset0:224 offset1:240
	s_waitcnt vmcnt(2)
	ds_write2_b64 v3, v[44:45], v[46:47] offset1:16
	s_waitcnt vmcnt(0)
	ds_write2_b64 v3, v[48:49], v[50:51] offset0:32 offset1:48
	v_mov_b32_e32 v3, v38
	v_mov_b32_e32 v4, v39
	s_and_saveexec_b64 s[6:7], s[0:1]
	s_cbranch_execz .LBB0_14
; %bb.13:
	global_load_dwordx2 v[0:1], v[0:1], off offset:2560
	v_mov_b32_e32 v3, 15
	v_mov_b32_e32 v4, 0
	;; [unrolled: 1-line block ×3, first 2 shown]
	s_waitcnt vmcnt(0)
	ds_write_b64 v2, v[0:1] offset:2440
.LBB0_14:
	s_or_b64 exec, exec, s[6:7]
	v_mov_b32_e32 v42, v38
.LBB0_15:
	s_or_b64 exec, exec, s[4:5]
	v_lshl_add_u32 v51, v5, 3, 0
	v_lshlrev_b32_e32 v5, 3, v38
	v_add_u32_e32 v52, v51, v5
	s_waitcnt lgkmcnt(0)
	; wave barrier
	s_waitcnt lgkmcnt(0)
	v_sub_u32_e32 v6, v51, v5
	ds_read_b32 v0, v52
	ds_read_b32 v1, v6 offset:2560
	v_lshlrev_b64 v[43:44], 3, v[3:4]
	v_cmp_ne_u32_e64 s[0:1], 0, v38
	s_waitcnt lgkmcnt(0)
	v_add_f32_e32 v2, v1, v0
	v_sub_f32_e32 v3, v0, v1
	s_and_saveexec_b64 s[4:5], s[0:1]
	s_xor_b64 s[4:5], exec, s[4:5]
	s_cbranch_execz .LBB0_17
; %bb.16:
	v_mov_b32_e32 v3, s13
	v_add_co_u32_e64 v2, s[0:1], s12, v43
	v_addc_co_u32_e64 v3, s[0:1], v3, v44, s[0:1]
	global_load_dwordx2 v[7:8], v[2:3], off offset:2480
	ds_read_b32 v2, v6 offset:2564
	ds_read_b32 v3, v52 offset:4
	v_add_f32_e32 v4, v1, v0
	v_sub_f32_e32 v9, v0, v1
	s_waitcnt lgkmcnt(0)
	v_add_f32_e32 v10, v2, v3
	v_sub_f32_e32 v1, v3, v2
	s_waitcnt vmcnt(0)
	v_fma_f32 v3, v10, v8, v1
	v_fma_f32 v0, -v9, v8, v4
	v_fma_f32 v1, v10, v8, -v1
	v_fma_f32 v2, v9, v8, v4
	v_fmac_f32_e32 v0, v7, v10
	v_fmac_f32_e32 v1, v9, v7
	v_fma_f32 v2, -v7, v10, v2
	v_fmac_f32_e32 v3, v9, v7
	ds_write_b64 v6, v[0:1] offset:2560
.LBB0_17:
	s_andn2_saveexec_b64 s[0:1], s[4:5]
	s_cbranch_execz .LBB0_19
; %bb.18:
	ds_read_b64 v[0:1], v51 offset:1280
	s_waitcnt lgkmcnt(0)
	v_add_f32_e32 v0, v0, v0
	v_mul_f32_e32 v1, -2.0, v1
	ds_write_b64 v51, v[0:1] offset:1280
.LBB0_19:
	s_or_b64 exec, exec, s[0:1]
	v_mov_b32_e32 v39, 0
	s_add_u32 s0, s12, 0x9b0
	v_lshlrev_b64 v[45:46], 3, v[38:39]
	s_addc_u32 s1, s13, 0
	v_mov_b32_e32 v1, s1
	v_add_co_u32_e64 v0, s[0:1], s0, v45
	v_addc_co_u32_e64 v1, s[0:1], v1, v46, s[0:1]
	global_load_dwordx2 v[7:8], v[0:1], off offset:128
	global_load_dwordx2 v[9:10], v[0:1], off offset:256
	;; [unrolled: 1-line block ×4, first 2 shown]
	ds_write_b64 v52, v[2:3]
	ds_read_b64 v[2:3], v52 offset:128
	ds_read_b64 v[15:16], v6 offset:2432
	global_load_dwordx2 v[17:18], v[0:1], off offset:640
	v_add3_u32 v54, 0, v5, v53
	v_add_u32_e32 v56, 0x400, v54
	v_add_u32_e32 v55, 0x800, v54
	s_waitcnt lgkmcnt(0)
	v_add_f32_e32 v4, v2, v15
	v_add_f32_e32 v19, v16, v3
	v_sub_f32_e32 v20, v2, v15
	v_sub_f32_e32 v2, v3, v16
	s_mov_b32 s4, 0x3f737871
	s_mov_b32 s1, 0xbf737871
	;; [unrolled: 1-line block ×4, first 2 shown]
	s_waitcnt vmcnt(4)
	v_fma_f32 v21, v20, v8, v4
	v_fma_f32 v3, v19, v8, v2
	v_fma_f32 v15, -v20, v8, v4
	v_fma_f32 v16, v19, v8, -v2
	v_fma_f32 v2, -v7, v19, v21
	v_fmac_f32_e32 v3, v20, v7
	v_fmac_f32_e32 v15, v7, v19
	v_fmac_f32_e32 v16, v20, v7
	ds_write_b64 v52, v[2:3] offset:128
	ds_write_b64 v6, v[15:16] offset:2432
	ds_read_b64 v[2:3], v52 offset:256
	ds_read_b64 v[7:8], v6 offset:2304
	global_load_dwordx2 v[15:16], v[0:1], off offset:768
	s_waitcnt lgkmcnt(0)
	v_add_f32_e32 v4, v2, v7
	v_add_f32_e32 v19, v8, v3
	v_sub_f32_e32 v20, v2, v7
	v_sub_f32_e32 v2, v3, v8
	s_waitcnt vmcnt(4)
	v_fma_f32 v21, v20, v10, v4
	v_fma_f32 v3, v19, v10, v2
	v_fma_f32 v7, -v20, v10, v4
	v_fma_f32 v8, v19, v10, -v2
	v_fma_f32 v2, -v9, v19, v21
	v_fmac_f32_e32 v3, v20, v9
	v_fmac_f32_e32 v7, v9, v19
	v_fmac_f32_e32 v8, v20, v9
	ds_write_b64 v52, v[2:3] offset:256
	ds_write_b64 v6, v[7:8] offset:2304
	ds_read_b64 v[2:3], v52 offset:384
	ds_read_b64 v[7:8], v6 offset:2176
	global_load_dwordx2 v[9:10], v[0:1], off offset:896
	s_waitcnt lgkmcnt(0)
	v_add_f32_e32 v4, v2, v7
	v_add_f32_e32 v19, v8, v3
	v_sub_f32_e32 v20, v2, v7
	v_sub_f32_e32 v2, v3, v8
	;; [unrolled: 19-line block ×4, first 2 shown]
	s_waitcnt vmcnt(4)
	v_fma_f32 v19, v14, v18, v4
	v_fma_f32 v3, v13, v18, v2
	v_fma_f32 v7, -v14, v18, v4
	v_fma_f32 v8, v13, v18, -v2
	v_fma_f32 v2, -v17, v13, v19
	v_fmac_f32_e32 v3, v14, v17
	v_fmac_f32_e32 v7, v17, v13
	v_fmac_f32_e32 v8, v14, v17
	ds_write_b64 v52, v[2:3] offset:640
	ds_write_b64 v6, v[7:8] offset:1920
	ds_read_b64 v[2:3], v52 offset:768
	ds_read_b64 v[7:8], v6 offset:1792
	s_waitcnt lgkmcnt(0)
	v_add_f32_e32 v4, v2, v7
	v_add_f32_e32 v13, v8, v3
	v_sub_f32_e32 v14, v2, v7
	v_sub_f32_e32 v2, v3, v8
	s_waitcnt vmcnt(3)
	v_fma_f32 v17, v14, v16, v4
	v_fma_f32 v3, v13, v16, v2
	v_fma_f32 v7, -v14, v16, v4
	v_fma_f32 v8, v13, v16, -v2
	v_fma_f32 v2, -v15, v13, v17
	v_fmac_f32_e32 v3, v14, v15
	v_fmac_f32_e32 v7, v15, v13
	v_fmac_f32_e32 v8, v14, v15
	ds_write_b64 v52, v[2:3] offset:768
	ds_write_b64 v6, v[7:8] offset:1792
	ds_read_b64 v[2:3], v52 offset:896
	ds_read_b64 v[7:8], v6 offset:1664
	s_waitcnt lgkmcnt(0)
	v_add_f32_e32 v4, v2, v7
	v_add_f32_e32 v13, v8, v3
	v_sub_f32_e32 v14, v2, v7
	v_sub_f32_e32 v2, v3, v8
	;; [unrolled: 18-line block ×4, first 2 shown]
	s_waitcnt vmcnt(0)
	v_fma_f32 v2, v10, v1, v4
	v_fma_f32 v3, v9, v1, v8
	v_fma_f32 v7, -v10, v1, v4
	v_fma_f32 v8, v9, v1, -v8
	v_fma_f32 v2, -v0, v9, v2
	v_fmac_f32_e32 v3, v10, v0
	v_fmac_f32_e32 v7, v0, v9
	;; [unrolled: 1-line block ×3, first 2 shown]
	ds_write_b64 v52, v[2:3] offset:1152
	ds_write_b64 v6, v[7:8] offset:1408
	s_waitcnt lgkmcnt(0)
	; wave barrier
	s_waitcnt lgkmcnt(0)
	s_waitcnt lgkmcnt(0)
	; wave barrier
	s_waitcnt lgkmcnt(0)
	ds_read2_b64 v[0:3], v54 offset0:16 offset1:32
	ds_read2_b64 v[4:7], v54 offset0:48 offset1:64
	;; [unrolled: 1-line block ×7, first 2 shown]
	ds_read_b64 v[57:58], v52
	ds_read2_b64 v[8:11], v56 offset0:112 offset1:128
	s_waitcnt lgkmcnt(5)
	v_sub_f32_e32 v62, v6, v14
	ds_read2_b64 v[24:27], v55 offset0:16 offset1:32
	ds_read_b64 v[49:50], v54 offset:2432
	s_waitcnt lgkmcnt(5)
	v_sub_f32_e32 v48, v15, v19
	s_waitcnt lgkmcnt(3)
	v_add_f32_e32 v47, v57, v6
	v_add_f32_e32 v47, v47, v14
	;; [unrolled: 1-line block ×3, first 2 shown]
	s_waitcnt lgkmcnt(2)
	v_add_f32_e32 v59, v47, v10
	v_add_f32_e32 v47, v14, v18
	v_fma_f32 v60, -0.5, v47, v57
	v_sub_f32_e32 v47, v7, v11
	v_mov_b32_e32 v61, v60
	v_fmac_f32_e32 v61, 0x3f737871, v47
	v_sub_f32_e32 v63, v10, v18
	v_fmac_f32_e32 v60, 0xbf737871, v47
	v_fmac_f32_e32 v61, 0x3f167918, v48
	v_add_f32_e32 v62, v62, v63
	v_fmac_f32_e32 v60, 0xbf167918, v48
	v_fmac_f32_e32 v61, 0x3e9e377a, v62
	;; [unrolled: 1-line block ×3, first 2 shown]
	v_add_f32_e32 v62, v6, v10
	v_fma_f32 v57, -0.5, v62, v57
	v_mov_b32_e32 v62, v57
	v_fmac_f32_e32 v62, 0xbf737871, v48
	v_fmac_f32_e32 v57, 0x3f737871, v48
	;; [unrolled: 1-line block ×4, first 2 shown]
	v_add_f32_e32 v47, v58, v7
	v_sub_f32_e32 v63, v14, v6
	v_sub_f32_e32 v64, v18, v10
	v_add_f32_e32 v47, v47, v15
	v_add_f32_e32 v63, v63, v64
	;; [unrolled: 1-line block ×3, first 2 shown]
	v_fmac_f32_e32 v62, 0x3e9e377a, v63
	v_fmac_f32_e32 v57, 0x3e9e377a, v63
	v_add_f32_e32 v63, v47, v11
	v_add_f32_e32 v47, v15, v19
	v_fma_f32 v64, -0.5, v47, v58
	v_sub_f32_e32 v6, v6, v10
	v_mov_b32_e32 v65, v64
	v_fmac_f32_e32 v65, 0xbf737871, v6
	v_sub_f32_e32 v10, v14, v18
	v_sub_f32_e32 v14, v7, v15
	;; [unrolled: 1-line block ×3, first 2 shown]
	v_fmac_f32_e32 v64, 0x3f737871, v6
	v_fmac_f32_e32 v65, 0xbf167918, v10
	v_add_f32_e32 v14, v14, v18
	v_fmac_f32_e32 v64, 0x3f167918, v10
	v_fmac_f32_e32 v65, 0x3e9e377a, v14
	;; [unrolled: 1-line block ×3, first 2 shown]
	v_add_f32_e32 v14, v7, v11
	v_fmac_f32_e32 v58, -0.5, v14
	v_mov_b32_e32 v66, v58
	v_fmac_f32_e32 v66, 0x3f737871, v10
	v_sub_f32_e32 v7, v15, v7
	v_sub_f32_e32 v11, v19, v11
	v_fmac_f32_e32 v58, 0xbf737871, v10
	v_fmac_f32_e32 v66, 0xbf167918, v6
	v_add_f32_e32 v7, v7, v11
	v_fmac_f32_e32 v58, 0x3f167918, v6
	v_fmac_f32_e32 v66, 0x3e9e377a, v7
	;; [unrolled: 1-line block ×3, first 2 shown]
	v_add_f32_e32 v7, v34, v22
	v_fma_f32 v7, -0.5, v7, v2
	s_waitcnt lgkmcnt(1)
	v_sub_f32_e32 v10, v31, v27
	v_mov_b32_e32 v11, v7
	v_fmac_f32_e32 v11, 0x3f737871, v10
	v_sub_f32_e32 v14, v35, v23
	v_sub_f32_e32 v15, v30, v34
	;; [unrolled: 1-line block ×3, first 2 shown]
	v_fmac_f32_e32 v7, 0xbf737871, v10
	v_fmac_f32_e32 v11, 0x3f167918, v14
	v_add_f32_e32 v15, v15, v18
	v_fmac_f32_e32 v7, 0xbf167918, v14
	v_fmac_f32_e32 v11, 0x3e9e377a, v15
	;; [unrolled: 1-line block ×3, first 2 shown]
	v_add_f32_e32 v15, v30, v26
	v_add_f32_e32 v6, v2, v30
	v_fma_f32 v2, -0.5, v15, v2
	v_mov_b32_e32 v15, v2
	v_fmac_f32_e32 v15, 0xbf737871, v14
	v_fmac_f32_e32 v2, 0x3f737871, v14
	;; [unrolled: 1-line block ×4, first 2 shown]
	v_add_f32_e32 v10, v3, v31
	v_add_f32_e32 v10, v10, v35
	;; [unrolled: 1-line block ×3, first 2 shown]
	v_sub_f32_e32 v18, v34, v30
	v_sub_f32_e32 v19, v22, v26
	v_add_f32_e32 v67, v10, v27
	v_add_f32_e32 v10, v35, v23
	;; [unrolled: 1-line block ×4, first 2 shown]
	v_fma_f32 v10, -0.5, v10, v3
	v_add_f32_e32 v6, v6, v22
	v_fmac_f32_e32 v15, 0x3e9e377a, v18
	v_fmac_f32_e32 v2, 0x3e9e377a, v18
	v_sub_f32_e32 v14, v30, v26
	v_mov_b32_e32 v18, v10
	v_add_f32_e32 v6, v6, v26
	v_fmac_f32_e32 v18, 0xbf737871, v14
	v_sub_f32_e32 v19, v34, v22
	v_sub_f32_e32 v22, v31, v35
	;; [unrolled: 1-line block ×3, first 2 shown]
	v_fmac_f32_e32 v10, 0x3f737871, v14
	v_fmac_f32_e32 v18, 0xbf167918, v19
	v_add_f32_e32 v22, v22, v26
	v_fmac_f32_e32 v10, 0x3f167918, v19
	v_fmac_f32_e32 v18, 0x3e9e377a, v22
	;; [unrolled: 1-line block ×3, first 2 shown]
	v_add_f32_e32 v22, v31, v27
	v_fma_f32 v3, -0.5, v22, v3
	v_mov_b32_e32 v26, v3
	v_sub_f32_e32 v22, v35, v31
	v_sub_f32_e32 v23, v23, v27
	v_fmac_f32_e32 v3, 0xbf737871, v19
	v_add_f32_e32 v22, v22, v23
	v_fmac_f32_e32 v3, 0x3f167918, v14
	v_fmac_f32_e32 v26, 0x3f737871, v19
	;; [unrolled: 1-line block ×3, first 2 shown]
	v_mul_f32_e32 v19, 0x3e9e377a, v2
	v_fma_f32 v68, v3, s4, -v19
	v_mul_f32_e32 v3, 0x3e9e377a, v3
	v_fmac_f32_e32 v26, 0xbf167918, v14
	v_mul_f32_e32 v14, 0x3f4f1bbd, v11
	v_mul_f32_e32 v11, 0xbf167918, v11
	v_fma_f32 v3, v2, s1, -v3
	v_mul_f32_e32 v2, 0x3f4f1bbd, v10
	v_fmac_f32_e32 v14, 0x3f167918, v18
	v_fmac_f32_e32 v11, 0x3f4f1bbd, v18
	v_add_f32_e32 v30, v57, v68
	v_mul_f32_e32 v18, 0x3f4f1bbd, v7
	v_fma_f32 v7, v7, s0, -v2
	v_sub_f32_e32 v2, v57, v68
	v_add_f32_e32 v57, v0, v28
	v_fmac_f32_e32 v26, 0x3e9e377a, v22
	v_add_f32_e32 v57, v57, v32
	v_mul_f32_e32 v27, 0x3f737871, v26
	v_add_f32_e32 v57, v57, v20
	v_fmac_f32_e32 v27, 0x3e9e377a, v15
	v_mul_f32_e32 v15, 0xbf737871, v15
	v_add_f32_e32 v31, v58, v3
	v_sub_f32_e32 v3, v58, v3
	v_add_f32_e32 v58, v57, v24
	v_add_f32_e32 v57, v32, v20
	;; [unrolled: 1-line block ×3, first 2 shown]
	v_fmac_f32_e32 v15, 0x3e9e377a, v26
	v_fma_f32 v69, v10, s5, -v18
	v_sub_f32_e32 v26, v59, v6
	v_fma_f32 v59, -0.5, v57, v0
	v_add_f32_e32 v18, v60, v69
	v_sub_f32_e32 v6, v60, v69
	v_sub_f32_e32 v57, v29, v25
	v_mov_b32_e32 v60, v59
	v_add_f32_e32 v47, v61, v14
	v_add_f32_e32 v22, v62, v27
	;; [unrolled: 1-line block ×3, first 2 shown]
	v_sub_f32_e32 v10, v61, v14
	v_sub_f32_e32 v14, v62, v27
	;; [unrolled: 1-line block ×3, first 2 shown]
	v_fmac_f32_e32 v60, 0x3f737871, v57
	v_sub_f32_e32 v61, v33, v21
	v_sub_f32_e32 v62, v28, v32
	;; [unrolled: 1-line block ×3, first 2 shown]
	v_fmac_f32_e32 v59, 0xbf737871, v57
	v_fmac_f32_e32 v60, 0x3f167918, v61
	v_add_f32_e32 v62, v62, v63
	v_fmac_f32_e32 v59, 0xbf167918, v61
	v_fmac_f32_e32 v60, 0x3e9e377a, v62
	;; [unrolled: 1-line block ×3, first 2 shown]
	v_add_f32_e32 v62, v28, v24
	v_fma_f32 v0, -0.5, v62, v0
	v_mov_b32_e32 v62, v0
	v_fmac_f32_e32 v62, 0xbf737871, v61
	v_fmac_f32_e32 v0, 0x3f737871, v61
	;; [unrolled: 1-line block ×4, first 2 shown]
	v_add_f32_e32 v57, v1, v29
	v_add_f32_e32 v57, v57, v33
	v_add_f32_e32 v57, v57, v21
	v_add_f32_e32 v19, v64, v7
	v_sub_f32_e32 v7, v64, v7
	v_sub_f32_e32 v63, v32, v28
	;; [unrolled: 1-line block ×3, first 2 shown]
	v_add_f32_e32 v61, v57, v25
	v_add_f32_e32 v57, v33, v21
	;; [unrolled: 1-line block ×3, first 2 shown]
	v_fma_f32 v57, -0.5, v57, v1
	v_fmac_f32_e32 v62, 0x3e9e377a, v63
	v_fmac_f32_e32 v0, 0x3e9e377a, v63
	v_sub_f32_e32 v24, v28, v24
	v_mov_b32_e32 v63, v57
	v_fmac_f32_e32 v63, 0xbf737871, v24
	v_sub_f32_e32 v28, v29, v33
	v_sub_f32_e32 v64, v25, v21
	v_sub_f32_e32 v20, v32, v20
	v_fmac_f32_e32 v57, 0x3f737871, v24
	v_add_f32_e32 v28, v28, v64
	v_fmac_f32_e32 v63, 0xbf167918, v20
	v_fmac_f32_e32 v57, 0x3f167918, v20
	;; [unrolled: 1-line block ×4, first 2 shown]
	v_add_f32_e32 v28, v29, v25
	v_fmac_f32_e32 v1, -0.5, v28
	v_mov_b32_e32 v64, v1
	v_fmac_f32_e32 v64, 0x3f737871, v20
	v_sub_f32_e32 v28, v33, v29
	v_sub_f32_e32 v21, v21, v25
	v_fmac_f32_e32 v1, 0xbf737871, v20
	v_fmac_f32_e32 v64, 0xbf167918, v24
	v_add_f32_e32 v21, v28, v21
	v_fmac_f32_e32 v1, 0x3f167918, v24
	v_fmac_f32_e32 v64, 0x3e9e377a, v21
	;; [unrolled: 1-line block ×3, first 2 shown]
	v_add_f32_e32 v21, v16, v8
	v_fma_f32 v21, -0.5, v21, v4
	s_waitcnt lgkmcnt(0)
	v_sub_f32_e32 v24, v13, v50
	v_mov_b32_e32 v25, v21
	v_fmac_f32_e32 v25, 0x3f737871, v24
	v_sub_f32_e32 v28, v17, v9
	v_sub_f32_e32 v29, v12, v16
	;; [unrolled: 1-line block ×3, first 2 shown]
	v_fmac_f32_e32 v21, 0xbf737871, v24
	v_fmac_f32_e32 v25, 0x3f167918, v28
	v_add_f32_e32 v29, v29, v32
	v_fmac_f32_e32 v21, 0xbf167918, v28
	v_fmac_f32_e32 v25, 0x3e9e377a, v29
	;; [unrolled: 1-line block ×3, first 2 shown]
	v_add_f32_e32 v29, v12, v49
	v_fma_f32 v29, -0.5, v29, v4
	v_add_f32_e32 v48, v65, v11
	v_sub_f32_e32 v11, v65, v11
	v_mov_b32_e32 v65, v29
	v_add_f32_e32 v20, v4, v12
	v_fmac_f32_e32 v65, 0xbf737871, v28
	v_sub_f32_e32 v4, v16, v12
	v_sub_f32_e32 v32, v8, v49
	v_fmac_f32_e32 v29, 0x3f737871, v28
	v_fmac_f32_e32 v65, 0x3f167918, v24
	v_add_f32_e32 v4, v4, v32
	v_fmac_f32_e32 v29, 0xbf167918, v24
	v_fmac_f32_e32 v65, 0x3e9e377a, v4
	;; [unrolled: 1-line block ×3, first 2 shown]
	v_add_f32_e32 v4, v5, v13
	v_add_f32_e32 v4, v4, v17
	;; [unrolled: 1-line block ×4, first 2 shown]
	v_sub_f32_e32 v15, v66, v15
	v_add_f32_e32 v66, v4, v50
	v_add_f32_e32 v4, v17, v9
	v_fma_f32 v24, -0.5, v4, v5
	v_add_f32_e32 v20, v20, v16
	v_sub_f32_e32 v4, v12, v49
	v_mov_b32_e32 v28, v24
	v_add_f32_e32 v20, v20, v8
	v_fmac_f32_e32 v28, 0xbf737871, v4
	v_sub_f32_e32 v8, v16, v8
	v_sub_f32_e32 v12, v13, v17
	;; [unrolled: 1-line block ×3, first 2 shown]
	v_fmac_f32_e32 v24, 0x3f737871, v4
	v_fmac_f32_e32 v28, 0xbf167918, v8
	v_add_f32_e32 v12, v12, v16
	v_fmac_f32_e32 v24, 0x3f167918, v8
	v_fmac_f32_e32 v28, 0x3e9e377a, v12
	;; [unrolled: 1-line block ×3, first 2 shown]
	v_add_f32_e32 v12, v13, v50
	v_fmac_f32_e32 v5, -0.5, v12
	v_mov_b32_e32 v16, v5
	v_sub_f32_e32 v12, v17, v13
	v_sub_f32_e32 v9, v9, v50
	v_fmac_f32_e32 v5, 0xbf737871, v8
	v_fmac_f32_e32 v16, 0x3f737871, v8
	v_add_f32_e32 v9, v12, v9
	v_fmac_f32_e32 v5, 0x3f167918, v4
	v_fmac_f32_e32 v16, 0xbf167918, v4
	;; [unrolled: 1-line block ×3, first 2 shown]
	v_mul_f32_e32 v4, 0x3e9e377a, v29
	v_fma_f32 v68, v5, s4, -v4
	v_mul_f32_e32 v5, 0x3e9e377a, v5
	v_mul_f32_e32 v17, 0x3f4f1bbd, v25
	v_fma_f32 v70, v29, s1, -v5
	v_mul_f32_e32 v5, 0x3f4f1bbd, v24
	v_add_f32_e32 v20, v20, v49
	v_fmac_f32_e32 v16, 0x3e9e377a, v9
	v_fmac_f32_e32 v17, 0x3f167918, v28
	v_mul_f32_e32 v25, 0xbf167918, v25
	v_fma_f32 v71, v21, s0, -v5
	v_add_f32_e32 v32, v58, v20
	v_add_f32_e32 v49, v60, v17
	v_mul_f32_e32 v67, 0x3f737871, v16
	v_fmac_f32_e32 v25, 0x3f4f1bbd, v28
	v_add_f32_e32 v5, v57, v71
	v_sub_f32_e32 v28, v58, v20
	v_sub_f32_e32 v20, v60, v17
	;; [unrolled: 1-line block ×3, first 2 shown]
	v_mul_u32_u24_e32 v57, 10, v38
	v_fmac_f32_e32 v67, 0x3e9e377a, v65
	v_mul_f32_e32 v4, 0x3f4f1bbd, v21
	v_mul_f32_e32 v65, 0xbf737871, v65
	v_lshlrev_b32_e32 v57, 3, v57
	v_add_f32_e32 v12, v0, v68
	v_fma_f32 v69, v24, s5, -v4
	v_fmac_f32_e32 v65, 0x3e9e377a, v16
	v_sub_f32_e32 v0, v0, v68
	v_add3_u32 v57, 0, v57, v53
	v_add_f32_e32 v8, v62, v67
	v_add_f32_e32 v4, v59, v69
	;; [unrolled: 1-line block ×6, first 2 shown]
	v_sub_f32_e32 v24, v62, v67
	v_sub_f32_e32 v16, v59, v69
	;; [unrolled: 1-line block ×6, first 2 shown]
	s_waitcnt lgkmcnt(0)
	; wave barrier
	ds_write2_b64 v57, v[34:35], v[47:48] offset1:1
	ds_write2_b64 v57, v[22:23], v[30:31] offset0:2 offset1:3
	ds_write2_b64 v57, v[18:19], v[26:27] offset0:4 offset1:5
	;; [unrolled: 1-line block ×9, first 2 shown]
	v_add_u32_e32 v0, -10, v38
	v_cmp_gt_u32_e64 s[0:1], 10, v38
	v_cndmask_b32_e64 v8, v0, v38, s[0:1]
	v_mul_i32_i24_e32 v0, 3, v8
	v_mov_b32_e32 v1, v39
	v_lshlrev_b64 v[0:1], 3, v[0:1]
	v_mov_b32_e32 v2, s13
	v_add_co_u32_e64 v4, s[0:1], s12, v0
	v_addc_co_u32_e64 v5, s[0:1], v2, v1, s[0:1]
	v_or_b32_e32 v0, 16, v38
	s_movk_i32 s0, 0xcd
	v_mul_lo_u16_sdwa v1, v0, s0 dst_sel:DWORD dst_unused:UNUSED_PAD src0_sel:BYTE_0 src1_sel:DWORD
	v_lshrrev_b16_e32 v2, 11, v1
	v_mul_lo_u16_e32 v1, 10, v2
	v_sub_u16_e32 v3, v0, v1
	v_mov_b32_e32 v1, 3
	v_mul_u32_u24_sdwa v0, v3, v1 dst_sel:DWORD dst_unused:UNUSED_PAD src0_sel:BYTE_0 src1_sel:DWORD
	v_lshlrev_b32_e32 v0, 3, v0
	s_waitcnt lgkmcnt(0)
	; wave barrier
	s_waitcnt lgkmcnt(0)
	global_load_dwordx4 v[11:14], v[4:5], off
	global_load_dwordx4 v[15:18], v0, s[12:13]
	global_load_dwordx2 v[73:74], v[4:5], off offset:16
	global_load_dwordx2 v[75:76], v0, s[12:13] offset:16
	v_or_b32_e32 v0, 32, v38
	v_mul_lo_u16_sdwa v4, v0, s0 dst_sel:DWORD dst_unused:UNUSED_PAD src0_sel:BYTE_0 src1_sel:DWORD
	v_lshrrev_b16_e32 v4, 11, v4
	v_mul_lo_u16_e32 v5, 10, v4
	v_sub_u16_e32 v5, v0, v5
	v_mul_u32_u24_sdwa v6, v5, v1 dst_sel:DWORD dst_unused:UNUSED_PAD src0_sel:BYTE_0 src1_sel:DWORD
	v_or_b32_e32 v7, 48, v38
	v_lshlrev_b32_e32 v9, 3, v6
	v_mul_lo_u16_sdwa v6, v7, s0 dst_sel:DWORD dst_unused:UNUSED_PAD src0_sel:BYTE_0 src1_sel:DWORD
	v_lshrrev_b16_e32 v6, 11, v6
	v_mul_lo_u16_e32 v10, 10, v6
	global_load_dwordx4 v[19:22], v9, s[12:13]
	v_sub_u16_e32 v7, v7, v10
	v_mul_u32_u24_sdwa v10, v7, v1 dst_sel:DWORD dst_unused:UNUSED_PAD src0_sel:BYTE_0 src1_sel:DWORD
	v_lshlrev_b32_e32 v10, 3, v10
	global_load_dwordx4 v[23:26], v10, s[12:13]
	global_load_dwordx2 v[77:78], v9, s[12:13] offset:16
	global_load_dwordx2 v[79:80], v10, s[12:13] offset:16
	v_or_b32_e32 v9, 64, v38
	v_mul_lo_u16_sdwa v10, v9, s0 dst_sel:DWORD dst_unused:UNUSED_PAD src0_sel:BYTE_0 src1_sel:DWORD
	v_lshrrev_b16_e32 v10, 11, v10
	v_mul_lo_u16_e32 v27, 10, v10
	v_sub_u16_e32 v9, v9, v27
	v_mul_u32_u24_sdwa v27, v9, v1 dst_sel:DWORD dst_unused:UNUSED_PAD src0_sel:BYTE_0 src1_sel:DWORD
	v_lshlrev_b32_e32 v31, 3, v27
	global_load_dwordx4 v[27:30], v31, s[12:13]
	global_load_dwordx2 v[81:82], v31, s[12:13] offset:16
	ds_read2_b64 v[31:34], v54 offset0:80 offset1:96
	ds_read2_b64 v[47:50], v54 offset0:144 offset1:160
	;; [unrolled: 1-line block ×6, first 2 shown]
	v_cmp_lt_u32_e64 s[0:1], 9, v38
	s_movk_i32 s4, 0x140
	v_lshlrev_b32_e32 v8, 3, v8
	v_mad_u32_u24 v2, v2, s4, 0
	v_lshlrev_b32_sdwa v3, v1, v3 dst_sel:DWORD dst_unused:UNUSED_PAD src0_sel:DWORD src1_sel:BYTE_0
	v_add3_u32 v2, v2, v3, v53
	v_lshlrev_b32_sdwa v3, v1, v5 dst_sel:DWORD dst_unused:UNUSED_PAD src0_sel:DWORD src1_sel:BYTE_0
	s_waitcnt vmcnt(8) lgkmcnt(5)
	v_mul_f32_e32 v85, v33, v16
	v_mul_f32_e32 v35, v12, v32
	v_mul_f32_e32 v83, v12, v31
	v_fma_f32 v35, v11, v31, -v35
	v_fmac_f32_e32 v83, v11, v32
	s_waitcnt lgkmcnt(4)
	v_mul_f32_e32 v11, v50, v14
	v_fma_f32 v84, v49, v13, -v11
	v_mul_f32_e32 v49, v49, v14
	v_mul_f32_e32 v11, v34, v16
	v_fmac_f32_e32 v49, v50, v13
	v_fma_f32 v50, v33, v15, -v11
	v_fmac_f32_e32 v85, v34, v15
	s_waitcnt vmcnt(7) lgkmcnt(3)
	v_mul_f32_e32 v15, v58, v74
	v_fma_f32 v86, v57, v73, -v15
	v_mul_f32_e32 v57, v57, v74
	s_waitcnt vmcnt(6)
	v_mul_f32_e32 v15, v60, v76
	v_fmac_f32_e32 v57, v58, v73
	v_fma_f32 v58, v59, v75, -v15
	v_mul_f32_e32 v59, v59, v76
	s_waitcnt lgkmcnt(1)
	v_mul_f32_e32 v15, v66, v18
	v_fmac_f32_e32 v59, v60, v75
	v_fma_f32 v60, v65, v17, -v15
	v_mul_f32_e32 v65, v65, v18
	s_waitcnt vmcnt(5)
	v_mul_f32_e32 v15, v68, v22
	ds_read2_b64 v[11:14], v55 offset0:16 offset1:32
	v_fmac_f32_e32 v65, v66, v17
	v_fma_f32 v66, v67, v21, -v15
	v_mul_f32_e32 v67, v67, v22
	v_fmac_f32_e32 v67, v68, v21
	ds_read2_b64 v[15:18], v54 offset0:208 offset1:224
	s_waitcnt lgkmcnt(2)
	v_mul_f32_e32 v21, v70, v20
	v_fma_f32 v68, v69, v19, -v21
	v_mul_f32_e32 v69, v69, v20
	v_fmac_f32_e32 v69, v70, v19
	s_waitcnt vmcnt(4)
	v_mul_f32_e32 v19, v72, v24
	v_fma_f32 v70, v71, v23, -v19
	v_mul_f32_e32 v71, v71, v24
	ds_read2_b64 v[31:34], v54 offset0:48 offset1:64
	v_fmac_f32_e32 v71, v72, v23
	ds_read_b64 v[19:20], v52
	ds_read_b64 v[21:22], v54 offset:2432
	s_waitcnt vmcnt(3) lgkmcnt(4)
	v_mul_f32_e32 v23, v12, v78
	v_fma_f32 v72, v11, v77, -v23
	v_mul_f32_e32 v73, v11, v78
	s_waitcnt lgkmcnt(3)
	v_mul_f32_e32 v11, v16, v26
	v_fma_f32 v74, v15, v25, -v11
	s_waitcnt vmcnt(2)
	v_mul_f32_e32 v11, v14, v80
	v_fma_f32 v76, v13, v79, -v11
	s_waitcnt vmcnt(1)
	v_mul_f32_e32 v11, v48, v28
	v_mul_f32_e32 v75, v15, v26
	v_fma_f32 v78, v47, v27, -v11
	v_mul_f32_e32 v11, v18, v30
	v_fmac_f32_e32 v73, v12, v77
	v_fmac_f32_e32 v75, v16, v25
	v_mul_f32_e32 v77, v13, v80
	v_fma_f32 v80, v17, v29, -v11
	s_waitcnt vmcnt(0) lgkmcnt(0)
	v_mul_f32_e32 v11, v22, v82
	v_sub_f32_e32 v16, v35, v86
	v_fmac_f32_e32 v77, v14, v79
	v_mul_f32_e32 v79, v47, v28
	v_fma_f32 v88, v21, v81, -v11
	v_fma_f32 v11, v35, 2.0, -v16
	v_sub_f32_e32 v35, v63, v66
	v_sub_f32_e32 v47, v69, v73
	v_mul_f32_e32 v87, v17, v30
	v_mul_f32_e32 v82, v21, v82
	v_sub_f32_e32 v26, v62, v65
	v_fma_f32 v28, v69, 2.0, -v47
	v_sub_f32_e32 v47, v35, v47
	v_fmac_f32_e32 v87, v18, v29
	v_fmac_f32_e32 v82, v22, v81
	v_sub_f32_e32 v18, v20, v49
	v_fma_f32 v22, v62, 2.0, -v26
	v_sub_f32_e32 v23, v85, v59
	v_fma_f32 v29, v63, 2.0, -v35
	v_fma_f32 v49, v35, 2.0, -v47
	v_sub_f32_e32 v35, v31, v74
	v_sub_f32_e32 v62, v32, v75
	;; [unrolled: 1-line block ×3, first 2 shown]
	v_fmac_f32_e32 v79, v48, v27
	v_sub_f32_e32 v17, v19, v84
	v_sub_f32_e32 v25, v61, v60
	;; [unrolled: 1-line block ×4, first 2 shown]
	v_fma_f32 v58, v32, 2.0, -v62
	v_fma_f32 v32, v71, 2.0, -v59
	v_sub_f32_e32 v59, v35, v59
	v_fma_f32 v13, v19, 2.0, -v17
	v_sub_f32_e32 v15, v83, v57
	v_fma_f32 v21, v61, 2.0, -v25
	v_fma_f32 v19, v50, 2.0, -v24
	v_sub_f32_e32 v50, v64, v67
	v_fma_f32 v27, v68, 2.0, -v48
	v_fma_f32 v57, v31, 2.0, -v35
	v_fma_f32 v61, v35, 2.0, -v59
	v_sub_f32_e32 v35, v33, v80
	v_sub_f32_e32 v68, v34, v87
	;; [unrolled: 1-line block ×3, first 2 shown]
	v_fma_f32 v30, v64, 2.0, -v50
	v_fma_f32 v64, v34, 2.0, -v68
	;; [unrolled: 1-line block ×3, first 2 shown]
	v_sub_f32_e32 v65, v35, v65
	v_fma_f32 v63, v33, 2.0, -v35
	v_fma_f32 v67, v35, 2.0, -v65
	v_mov_b32_e32 v35, 0x140
	v_fma_f32 v14, v20, 2.0, -v18
	v_fma_f32 v12, v83, 2.0, -v15
	;; [unrolled: 1-line block ×3, first 2 shown]
	v_cndmask_b32_e64 v35, 0, v35, s[0:1]
	v_sub_f32_e32 v11, v13, v11
	v_sub_f32_e32 v12, v14, v12
	;; [unrolled: 1-line block ×3, first 2 shown]
	v_add_f32_e32 v16, v18, v16
	v_sub_f32_e32 v19, v21, v19
	v_sub_f32_e32 v20, v22, v20
	;; [unrolled: 1-line block ×3, first 2 shown]
	v_add_f32_e32 v24, v26, v24
	v_add_u32_e32 v35, 0, v35
	v_fma_f32 v13, v13, 2.0, -v11
	v_fma_f32 v14, v14, 2.0, -v12
	;; [unrolled: 1-line block ×8, first 2 shown]
	v_add3_u32 v8, v35, v8, v53
	v_sub_f32_e32 v27, v29, v27
	v_sub_f32_e32 v28, v30, v28
	v_add_f32_e32 v48, v50, v48
	v_sub_f32_e32 v60, v70, v76
	s_waitcnt lgkmcnt(0)
	; wave barrier
	ds_write2_b64 v8, v[13:14], v[17:18] offset1:10
	ds_write2_b64 v8, v[11:12], v[15:16] offset0:20 offset1:30
	ds_write2_b64 v2, v[21:22], v[25:26] offset1:10
	ds_write2_b64 v2, v[19:20], v[23:24] offset0:20 offset1:30
	v_mad_u32_u24 v2, v4, s4, 0
	v_fma_f32 v29, v29, 2.0, -v27
	v_fma_f32 v30, v30, 2.0, -v28
	;; [unrolled: 1-line block ×4, first 2 shown]
	v_add3_u32 v2, v2, v3, v53
	v_sub_f32_e32 v31, v57, v31
	v_sub_f32_e32 v32, v58, v32
	v_add_f32_e32 v60, v62, v60
	v_sub_f32_e32 v66, v78, v88
	ds_write2_b64 v2, v[29:30], v[49:50] offset1:10
	ds_write2_b64 v2, v[27:28], v[47:48] offset0:20 offset1:30
	v_mad_u32_u24 v2, v6, s4, 0
	v_lshlrev_b32_sdwa v3, v1, v7 dst_sel:DWORD dst_unused:UNUSED_PAD src0_sel:DWORD src1_sel:BYTE_0
	v_fma_f32 v57, v57, 2.0, -v31
	v_fma_f32 v58, v58, 2.0, -v32
	;; [unrolled: 1-line block ×4, first 2 shown]
	v_add3_u32 v2, v2, v3, v53
	v_sub_f32_e32 v33, v63, v33
	v_sub_f32_e32 v34, v64, v34
	v_add_f32_e32 v66, v68, v66
	ds_write2_b64 v2, v[57:58], v[61:62] offset1:10
	ds_write2_b64 v2, v[31:32], v[59:60] offset0:20 offset1:30
	v_mad_u32_u24 v2, v10, s4, 0
	v_lshlrev_b32_sdwa v1, v1, v9 dst_sel:DWORD dst_unused:UNUSED_PAD src0_sel:DWORD src1_sel:BYTE_0
	v_fma_f32 v63, v63, 2.0, -v33
	v_fma_f32 v64, v64, 2.0, -v34
	v_fma_f32 v68, v68, 2.0, -v66
	v_add3_u32 v1, v2, v1, v53
	ds_write2_b64 v1, v[63:64], v[67:68] offset1:10
	ds_write2_b64 v1, v[33:34], v[65:66] offset0:20 offset1:30
	v_mul_u32_u24_e32 v1, 3, v38
	v_lshlrev_b32_e32 v18, 3, v1
	v_add_u32_e32 v1, -8, v38
	v_cmp_gt_u32_e64 s[0:1], 40, v0
	s_waitcnt lgkmcnt(0)
	; wave barrier
	s_waitcnt lgkmcnt(0)
	global_load_dwordx4 v[2:5], v18, s[12:13] offset:240
	global_load_dwordx4 v[6:9], v18, s[12:13] offset:624
	global_load_dwordx2 v[34:35], v18, s[12:13] offset:256
	global_load_dwordx2 v[73:74], v18, s[12:13] offset:640
	v_cndmask_b32_e64 v1, v1, v0, s[0:1]
	v_mul_i32_i24_e32 v38, 3, v1
	v_lshlrev_b64 v[10:11], 3, v[38:39]
	v_mov_b32_e32 v12, s13
	v_add_co_u32_e64 v14, s[0:1], s12, v10
	v_addc_co_u32_e64 v15, s[0:1], v12, v11, s[0:1]
	global_load_dwordx4 v[10:13], v[14:15], off offset:240
	global_load_dwordx2 v[75:76], v[14:15], off offset:256
	v_add_u32_e32 v19, 0xc0, v18
	global_load_dwordx4 v[14:17], v19, s[12:13] offset:240
	global_load_dwordx2 v[77:78], v19, s[12:13] offset:256
	v_add_u32_e32 v22, 0x240, v18
	global_load_dwordx4 v[18:21], v22, s[12:13] offset:240
	global_load_dwordx2 v[79:80], v22, s[12:13] offset:256
	ds_read2_b64 v[22:25], v54 offset0:80 offset1:96
	ds_read2_b64 v[26:29], v54 offset0:144 offset1:160
	;; [unrolled: 1-line block ×8, first 2 shown]
	v_cmp_lt_u32_e64 s[0:1], 39, v0
	v_lshlrev_b32_e32 v1, 3, v1
	s_waitcnt vmcnt(9) lgkmcnt(7)
	v_mul_f32_e32 v38, v3, v23
	v_mul_f32_e32 v81, v3, v22
	v_fma_f32 v38, v2, v22, -v38
	v_fmac_f32_e32 v81, v2, v23
	s_waitcnt lgkmcnt(6)
	v_mul_f32_e32 v2, v5, v29
	v_fma_f32 v82, v4, v28, -v2
	v_mul_f32_e32 v28, v5, v28
	s_waitcnt vmcnt(8)
	v_mul_f32_e32 v2, v7, v25
	v_fmac_f32_e32 v28, v4, v29
	v_fma_f32 v29, v6, v24, -v2
	v_mul_f32_e32 v24, v7, v24
	v_fmac_f32_e32 v24, v6, v25
	s_waitcnt vmcnt(7) lgkmcnt(5)
	v_mul_f32_e32 v6, v35, v31
	v_fma_f32 v25, v34, v30, -v6
	v_mul_f32_e32 v30, v35, v30
	s_waitcnt vmcnt(6)
	v_mul_f32_e32 v6, v33, v74
	v_fmac_f32_e32 v30, v34, v31
	v_fma_f32 v31, v32, v73, -v6
	v_mul_f32_e32 v32, v32, v74
	ds_read2_b64 v[2:5], v54 offset0:208 offset1:224
	v_fmac_f32_e32 v32, v33, v73
	s_waitcnt lgkmcnt(4)
	v_mul_f32_e32 v33, v58, v9
	v_mul_f32_e32 v34, v57, v9
	v_fma_f32 v33, v57, v8, -v33
	v_fmac_f32_e32 v34, v58, v8
	s_waitcnt vmcnt(5) lgkmcnt(3)
	v_mul_f32_e32 v8, v62, v11
	v_fma_f32 v35, v61, v10, -v8
	v_mul_f32_e32 v8, v60, v13
	v_fma_f32 v58, v59, v12, -v8
	v_mul_f32_e32 v59, v59, v13
	s_waitcnt vmcnt(4) lgkmcnt(2)
	v_mul_f32_e32 v8, v66, v76
	ds_read_b64 v[6:7], v52
	ds_read_b64 v[22:23], v54 offset:2432
	v_mul_f32_e32 v57, v61, v11
	v_fmac_f32_e32 v59, v60, v12
	v_fma_f32 v60, v65, v75, -v8
	s_waitcnt vmcnt(3)
	v_mul_f32_e32 v8, v64, v15
	v_fmac_f32_e32 v57, v62, v10
	v_fma_f32 v62, v63, v14, -v8
	v_mul_f32_e32 v63, v63, v15
	s_waitcnt lgkmcnt(2)
	v_mul_f32_e32 v8, v3, v17
	v_mul_f32_e32 v61, v65, v76
	v_fmac_f32_e32 v63, v64, v14
	v_fma_f32 v64, v2, v16, -v8
	v_mul_f32_e32 v65, v2, v17
	s_waitcnt vmcnt(2)
	v_mul_f32_e32 v2, v68, v78
	v_fmac_f32_e32 v61, v66, v75
	v_fma_f32 v66, v67, v77, -v2
	v_mul_f32_e32 v67, v67, v78
	s_waitcnt vmcnt(1)
	v_mul_f32_e32 v2, v27, v19
	v_fmac_f32_e32 v67, v68, v77
	v_fma_f32 v68, v26, v18, -v2
	v_mul_f32_e32 v2, v5, v21
	v_mul_f32_e32 v75, v4, v21
	s_waitcnt lgkmcnt(1)
	v_sub_f32_e32 v8, v6, v82
	v_sub_f32_e32 v9, v7, v28
	v_fmac_f32_e32 v65, v3, v16
	v_fma_f32 v74, v4, v20, -v2
	v_fmac_f32_e32 v75, v5, v20
	s_waitcnt vmcnt(0) lgkmcnt(0)
	v_mul_f32_e32 v2, v23, v80
	v_fma_f32 v4, v6, 2.0, -v8
	v_fma_f32 v5, v7, 2.0, -v9
	v_sub_f32_e32 v7, v38, v25
	v_sub_f32_e32 v6, v81, v30
	;; [unrolled: 1-line block ×6, first 2 shown]
	v_fma_f32 v76, v22, v79, -v2
	v_fma_f32 v2, v38, 2.0, -v7
	v_fma_f32 v3, v81, 2.0, -v6
	;; [unrolled: 1-line block ×6, first 2 shown]
	v_sub_f32_e32 v2, v4, v2
	v_sub_f32_e32 v3, v5, v3
	;; [unrolled: 1-line block ×4, first 2 shown]
	v_mul_f32_e32 v73, v26, v19
	v_mul_f32_e32 v77, v22, v80
	v_fma_f32 v4, v4, 2.0, -v2
	v_fma_f32 v5, v5, 2.0, -v3
	v_sub_f32_e32 v6, v8, v6
	v_add_f32_e32 v7, v9, v7
	v_fma_f32 v12, v12, 2.0, -v10
	v_fma_f32 v13, v13, 2.0, -v11
	v_sub_f32_e32 v14, v16, v14
	v_add_f32_e32 v15, v17, v15
	v_fmac_f32_e32 v73, v27, v18
	v_fmac_f32_e32 v77, v23, v79
	v_fma_f32 v8, v8, 2.0, -v6
	v_fma_f32 v9, v9, 2.0, -v7
	;; [unrolled: 1-line block ×4, first 2 shown]
	v_sub_f32_e32 v24, v49, v58
	v_sub_f32_e32 v25, v50, v59
	;; [unrolled: 1-line block ×4, first 2 shown]
	s_waitcnt lgkmcnt(0)
	; wave barrier
	ds_write2_b64 v54, v[4:5], v[12:13] offset1:16
	ds_write2_b64 v54, v[8:9], v[16:17] offset0:40 offset1:56
	ds_write2_b64 v54, v[2:3], v[10:11] offset0:80 offset1:96
	;; [unrolled: 1-line block ×3, first 2 shown]
	v_mov_b32_e32 v2, 0x500
	v_fma_f32 v20, v49, 2.0, -v24
	v_fma_f32 v21, v50, 2.0, -v25
	;; [unrolled: 1-line block ×4, first 2 shown]
	v_sub_f32_e32 v32, v69, v64
	v_sub_f32_e32 v33, v70, v65
	;; [unrolled: 1-line block ×8, first 2 shown]
	v_cndmask_b32_e64 v0, 0, v2, s[0:1]
	v_sub_f32_e32 v18, v20, v18
	v_sub_f32_e32 v19, v21, v19
	;; [unrolled: 1-line block ×3, first 2 shown]
	v_add_f32_e32 v23, v25, v23
	v_fma_f32 v28, v69, 2.0, -v32
	v_fma_f32 v29, v70, 2.0, -v33
	;; [unrolled: 1-line block ×8, first 2 shown]
	v_add_u32_e32 v0, 0, v0
	v_fma_f32 v20, v20, 2.0, -v18
	v_fma_f32 v21, v21, 2.0, -v19
	;; [unrolled: 1-line block ×4, first 2 shown]
	v_sub_f32_e32 v26, v28, v26
	v_sub_f32_e32 v27, v29, v27
	;; [unrolled: 1-line block ×3, first 2 shown]
	v_add_f32_e32 v31, v33, v31
	v_sub_f32_e32 v34, v47, v34
	v_sub_f32_e32 v35, v48, v35
	;; [unrolled: 1-line block ×3, first 2 shown]
	v_add_f32_e32 v50, v58, v50
	v_add3_u32 v0, v0, v1, v53
	v_fma_f32 v28, v28, 2.0, -v26
	v_fma_f32 v29, v29, 2.0, -v27
	;; [unrolled: 1-line block ×8, first 2 shown]
	ds_write2_b64 v0, v[20:21], v[24:25] offset1:40
	ds_write2_b64 v0, v[18:19], v[22:23] offset0:80 offset1:120
	ds_write2_b64 v54, v[28:29], v[47:48] offset0:168 offset1:184
	ds_write2_b64 v54, v[32:33], v[57:58] offset0:208 offset1:224
	ds_write2_b64 v56, v[26:27], v[34:35] offset0:120 offset1:136
	ds_write2_b64 v55, v[30:31], v[49:50] offset0:32 offset1:48
	v_mov_b32_e32 v1, s13
	v_add_co_u32_e64 v0, s[0:1], s12, v43
	v_addc_co_u32_e64 v1, s[0:1], v1, v44, s[0:1]
	s_waitcnt lgkmcnt(0)
	; wave barrier
	s_waitcnt lgkmcnt(0)
	global_load_dwordx2 v[43:44], v[0:1], off offset:1200
	v_mov_b32_e32 v1, s13
	v_add_co_u32_e64 v0, s[0:1], s12, v45
	v_addc_co_u32_e64 v1, s[0:1], v1, v46, s[0:1]
	global_load_dwordx2 v[45:46], v[0:1], off offset:1328
	global_load_dwordx2 v[47:48], v[0:1], off offset:1456
	global_load_dwordx2 v[49:50], v[0:1], off offset:1584
	global_load_dwordx2 v[57:58], v[0:1], off offset:1712
	global_load_dwordx2 v[59:60], v[0:1], off offset:1840
	global_load_dwordx2 v[61:62], v[0:1], off offset:1968
	global_load_dwordx2 v[63:64], v[0:1], off offset:2096
	global_load_dwordx2 v[65:66], v[0:1], off offset:2224
	global_load_dwordx2 v[67:68], v[0:1], off offset:2352
	ds_read2_b64 v[0:3], v54 offset0:144 offset1:160
	ds_read2_b64 v[4:7], v54 offset0:16 offset1:32
	;; [unrolled: 1-line block ×9, first 2 shown]
	ds_read_b64 v[52:53], v52
	ds_read_b64 v[69:70], v54 offset:2432
	s_waitcnt lgkmcnt(0)
	; wave barrier
	s_waitcnt vmcnt(9) lgkmcnt(0)
	v_mul_f32_e32 v38, v44, v3
	v_fma_f32 v38, v43, v2, -v38
	v_mul_f32_e32 v44, v44, v2
	s_waitcnt vmcnt(8)
	v_mul_f32_e32 v2, v46, v9
	v_fmac_f32_e32 v44, v43, v3
	v_fma_f32 v43, v45, v8, -v2
	v_mul_f32_e32 v46, v46, v8
	s_waitcnt vmcnt(7)
	v_mul_f32_e32 v2, v48, v11
	v_fmac_f32_e32 v46, v45, v9
	;; [unrolled: 5-line block ×8, first 2 shown]
	v_fma_f32 v63, v34, v65, -v2
	v_mul_f32_e32 v64, v34, v66
	s_waitcnt vmcnt(0)
	v_mul_f32_e32 v2, v70, v68
	v_mul_f32_e32 v66, v69, v68
	v_fmac_f32_e32 v64, v35, v65
	v_fma_f32 v65, v69, v67, -v2
	v_fmac_f32_e32 v66, v70, v67
	v_sub_f32_e32 v2, v52, v38
	v_sub_f32_e32 v3, v53, v44
	;; [unrolled: 1-line block ×4, first 2 shown]
	v_fma_f32 v8, v52, 2.0, -v2
	v_fma_f32 v9, v53, 2.0, -v3
	;; [unrolled: 1-line block ×4, first 2 shown]
	v_sub_f32_e32 v16, v6, v45
	v_sub_f32_e32 v17, v7, v48
	;; [unrolled: 1-line block ×16, first 2 shown]
	v_fma_f32 v6, v6, 2.0, -v16
	v_fma_f32 v7, v7, 2.0, -v17
	;; [unrolled: 1-line block ×16, first 2 shown]
	ds_write2_b64 v54, v[8:9], v[4:5] offset1:16
	ds_write2_b64 v54, v[2:3], v[10:11] offset0:160 offset1:176
	ds_write2_b64 v54, v[6:7], v[12:13] offset0:32 offset1:48
	ds_write2_b64 v54, v[16:17], v[18:19] offset0:192 offset1:208
	ds_write2_b64 v54, v[14:15], v[20:21] offset0:64 offset1:80
	ds_write2_b64 v54, v[24:25], v[26:27] offset0:224 offset1:240
	ds_write2_b64 v54, v[22:23], v[28:29] offset0:96 offset1:112
	ds_write2_b64 v55, v[32:33], v[34:35] offset1:16
	ds_write2_b64 v54, v[30:31], v[0:1] offset0:128 offset1:144
	ds_write2_b64 v55, v[43:44], v[45:46] offset0:32 offset1:48
	s_waitcnt lgkmcnt(0)
	; wave barrier
	s_waitcnt lgkmcnt(0)
	s_and_saveexec_b64 s[0:1], vcc
	s_cbranch_execz .LBB0_21
; %bb.20:
	v_mul_lo_u32 v0, s3, v40
	v_mul_lo_u32 v1, s2, v41
	v_mad_u64_u32 v[4:5], s[0:1], s2, v40, 0
	v_mov_b32_e32 v7, s11
	v_lshl_add_u32 v6, v42, 3, v51
	v_add3_u32 v5, v5, v1, v0
	v_lshlrev_b64 v[4:5], 3, v[4:5]
	v_mov_b32_e32 v43, v39
	v_add_co_u32_e32 v8, vcc, s10, v4
	v_addc_co_u32_e32 v7, vcc, v7, v5, vcc
	v_lshlrev_b64 v[4:5], 3, v[36:37]
	ds_read2_b64 v[0:3], v6 offset1:16
	v_add_co_u32_e32 v8, vcc, v8, v4
	v_addc_co_u32_e32 v7, vcc, v7, v5, vcc
	v_lshlrev_b64 v[4:5], 3, v[42:43]
	v_add_u32_e32 v38, 16, v42
	v_add_co_u32_e32 v4, vcc, v8, v4
	v_addc_co_u32_e32 v5, vcc, v7, v5, vcc
	s_waitcnt lgkmcnt(0)
	global_store_dwordx2 v[4:5], v[0:1], off
	v_lshlrev_b64 v[0:1], 3, v[38:39]
	v_add_u32_e32 v38, 32, v42
	v_add_co_u32_e32 v0, vcc, v8, v0
	v_addc_co_u32_e32 v1, vcc, v7, v1, vcc
	global_store_dwordx2 v[0:1], v[2:3], off
	ds_read2_b64 v[0:3], v6 offset0:32 offset1:48
	v_lshlrev_b64 v[4:5], 3, v[38:39]
	v_add_u32_e32 v38, 48, v42
	v_add_co_u32_e32 v4, vcc, v8, v4
	v_addc_co_u32_e32 v5, vcc, v7, v5, vcc
	s_waitcnt lgkmcnt(0)
	global_store_dwordx2 v[4:5], v[0:1], off
	v_lshlrev_b64 v[0:1], 3, v[38:39]
	v_add_u32_e32 v38, 64, v42
	v_add_co_u32_e32 v0, vcc, v8, v0
	v_addc_co_u32_e32 v1, vcc, v7, v1, vcc
	global_store_dwordx2 v[0:1], v[2:3], off
	ds_read2_b64 v[0:3], v6 offset0:64 offset1:80
	;; [unrolled: 12-line block ×7, first 2 shown]
	v_lshlrev_b64 v[4:5], 3, v[38:39]
	v_add_u32_e32 v38, 0xf0, v42
	v_add_co_u32_e32 v4, vcc, v8, v4
	v_addc_co_u32_e32 v5, vcc, v7, v5, vcc
	s_waitcnt lgkmcnt(0)
	global_store_dwordx2 v[4:5], v[0:1], off
	v_lshlrev_b64 v[0:1], 3, v[38:39]
	v_add_u32_e32 v6, 0x800, v6
	v_add_co_u32_e32 v0, vcc, v8, v0
	v_addc_co_u32_e32 v1, vcc, v7, v1, vcc
	global_store_dwordx2 v[0:1], v[2:3], off
	v_add_u32_e32 v38, 0x100, v42
	ds_read2_b64 v[0:3], v6 offset1:16
	v_lshlrev_b64 v[4:5], 3, v[38:39]
	v_add_u32_e32 v38, 0x110, v42
	v_add_co_u32_e32 v4, vcc, v8, v4
	v_addc_co_u32_e32 v5, vcc, v7, v5, vcc
	s_waitcnt lgkmcnt(0)
	global_store_dwordx2 v[4:5], v[0:1], off
	v_lshlrev_b64 v[0:1], 3, v[38:39]
	v_add_u32_e32 v38, 0x120, v42
	v_add_co_u32_e32 v0, vcc, v8, v0
	v_addc_co_u32_e32 v1, vcc, v7, v1, vcc
	global_store_dwordx2 v[0:1], v[2:3], off
	ds_read2_b64 v[0:3], v6 offset0:32 offset1:48
	v_lshlrev_b64 v[4:5], 3, v[38:39]
	v_add_u32_e32 v38, 0x130, v42
	v_add_co_u32_e32 v4, vcc, v8, v4
	v_addc_co_u32_e32 v5, vcc, v7, v5, vcc
	s_waitcnt lgkmcnt(0)
	global_store_dwordx2 v[4:5], v[0:1], off
	v_lshlrev_b64 v[0:1], 3, v[38:39]
	v_add_co_u32_e32 v0, vcc, v8, v0
	v_addc_co_u32_e32 v1, vcc, v7, v1, vcc
	global_store_dwordx2 v[0:1], v[2:3], off
.LBB0_21:
	s_endpgm
	.section	.rodata,"a",@progbits
	.p2align	6, 0x0
	.amdhsa_kernel fft_rtc_fwd_len320_factors_10_4_4_2_wgs_64_tpt_16_halfLds_sp_op_CI_CI_unitstride_sbrr_C2R_dirReg
		.amdhsa_group_segment_fixed_size 0
		.amdhsa_private_segment_fixed_size 0
		.amdhsa_kernarg_size 104
		.amdhsa_user_sgpr_count 6
		.amdhsa_user_sgpr_private_segment_buffer 1
		.amdhsa_user_sgpr_dispatch_ptr 0
		.amdhsa_user_sgpr_queue_ptr 0
		.amdhsa_user_sgpr_kernarg_segment_ptr 1
		.amdhsa_user_sgpr_dispatch_id 0
		.amdhsa_user_sgpr_flat_scratch_init 0
		.amdhsa_user_sgpr_private_segment_size 0
		.amdhsa_uses_dynamic_stack 0
		.amdhsa_system_sgpr_private_segment_wavefront_offset 0
		.amdhsa_system_sgpr_workgroup_id_x 1
		.amdhsa_system_sgpr_workgroup_id_y 0
		.amdhsa_system_sgpr_workgroup_id_z 0
		.amdhsa_system_sgpr_workgroup_info 0
		.amdhsa_system_vgpr_workitem_id 0
		.amdhsa_next_free_vgpr 89
		.amdhsa_next_free_sgpr 28
		.amdhsa_reserve_vcc 1
		.amdhsa_reserve_flat_scratch 0
		.amdhsa_float_round_mode_32 0
		.amdhsa_float_round_mode_16_64 0
		.amdhsa_float_denorm_mode_32 3
		.amdhsa_float_denorm_mode_16_64 3
		.amdhsa_dx10_clamp 1
		.amdhsa_ieee_mode 1
		.amdhsa_fp16_overflow 0
		.amdhsa_exception_fp_ieee_invalid_op 0
		.amdhsa_exception_fp_denorm_src 0
		.amdhsa_exception_fp_ieee_div_zero 0
		.amdhsa_exception_fp_ieee_overflow 0
		.amdhsa_exception_fp_ieee_underflow 0
		.amdhsa_exception_fp_ieee_inexact 0
		.amdhsa_exception_int_div_zero 0
	.end_amdhsa_kernel
	.text
.Lfunc_end0:
	.size	fft_rtc_fwd_len320_factors_10_4_4_2_wgs_64_tpt_16_halfLds_sp_op_CI_CI_unitstride_sbrr_C2R_dirReg, .Lfunc_end0-fft_rtc_fwd_len320_factors_10_4_4_2_wgs_64_tpt_16_halfLds_sp_op_CI_CI_unitstride_sbrr_C2R_dirReg
                                        ; -- End function
	.section	.AMDGPU.csdata,"",@progbits
; Kernel info:
; codeLenInByte = 9388
; NumSgprs: 32
; NumVgprs: 89
; ScratchSize: 0
; MemoryBound: 0
; FloatMode: 240
; IeeeMode: 1
; LDSByteSize: 0 bytes/workgroup (compile time only)
; SGPRBlocks: 3
; VGPRBlocks: 22
; NumSGPRsForWavesPerEU: 32
; NumVGPRsForWavesPerEU: 89
; Occupancy: 2
; WaveLimiterHint : 1
; COMPUTE_PGM_RSRC2:SCRATCH_EN: 0
; COMPUTE_PGM_RSRC2:USER_SGPR: 6
; COMPUTE_PGM_RSRC2:TRAP_HANDLER: 0
; COMPUTE_PGM_RSRC2:TGID_X_EN: 1
; COMPUTE_PGM_RSRC2:TGID_Y_EN: 0
; COMPUTE_PGM_RSRC2:TGID_Z_EN: 0
; COMPUTE_PGM_RSRC2:TIDIG_COMP_CNT: 0
	.type	__hip_cuid_2c8b6be490ff0a8b,@object ; @__hip_cuid_2c8b6be490ff0a8b
	.section	.bss,"aw",@nobits
	.globl	__hip_cuid_2c8b6be490ff0a8b
__hip_cuid_2c8b6be490ff0a8b:
	.byte	0                               ; 0x0
	.size	__hip_cuid_2c8b6be490ff0a8b, 1

	.ident	"AMD clang version 19.0.0git (https://github.com/RadeonOpenCompute/llvm-project roc-6.4.0 25133 c7fe45cf4b819c5991fe208aaa96edf142730f1d)"
	.section	".note.GNU-stack","",@progbits
	.addrsig
	.addrsig_sym __hip_cuid_2c8b6be490ff0a8b
	.amdgpu_metadata
---
amdhsa.kernels:
  - .args:
      - .actual_access:  read_only
        .address_space:  global
        .offset:         0
        .size:           8
        .value_kind:     global_buffer
      - .offset:         8
        .size:           8
        .value_kind:     by_value
      - .actual_access:  read_only
        .address_space:  global
        .offset:         16
        .size:           8
        .value_kind:     global_buffer
      - .actual_access:  read_only
        .address_space:  global
        .offset:         24
        .size:           8
        .value_kind:     global_buffer
      - .actual_access:  read_only
        .address_space:  global
        .offset:         32
        .size:           8
        .value_kind:     global_buffer
      - .offset:         40
        .size:           8
        .value_kind:     by_value
      - .actual_access:  read_only
        .address_space:  global
        .offset:         48
        .size:           8
        .value_kind:     global_buffer
      - .actual_access:  read_only
        .address_space:  global
        .offset:         56
        .size:           8
        .value_kind:     global_buffer
      - .offset:         64
        .size:           4
        .value_kind:     by_value
      - .actual_access:  read_only
        .address_space:  global
        .offset:         72
        .size:           8
        .value_kind:     global_buffer
      - .actual_access:  read_only
        .address_space:  global
        .offset:         80
        .size:           8
        .value_kind:     global_buffer
      - .actual_access:  read_only
        .address_space:  global
        .offset:         88
        .size:           8
        .value_kind:     global_buffer
      - .actual_access:  write_only
        .address_space:  global
        .offset:         96
        .size:           8
        .value_kind:     global_buffer
    .group_segment_fixed_size: 0
    .kernarg_segment_align: 8
    .kernarg_segment_size: 104
    .language:       OpenCL C
    .language_version:
      - 2
      - 0
    .max_flat_workgroup_size: 64
    .name:           fft_rtc_fwd_len320_factors_10_4_4_2_wgs_64_tpt_16_halfLds_sp_op_CI_CI_unitstride_sbrr_C2R_dirReg
    .private_segment_fixed_size: 0
    .sgpr_count:     32
    .sgpr_spill_count: 0
    .symbol:         fft_rtc_fwd_len320_factors_10_4_4_2_wgs_64_tpt_16_halfLds_sp_op_CI_CI_unitstride_sbrr_C2R_dirReg.kd
    .uniform_work_group_size: 1
    .uses_dynamic_stack: false
    .vgpr_count:     89
    .vgpr_spill_count: 0
    .wavefront_size: 64
amdhsa.target:   amdgcn-amd-amdhsa--gfx906
amdhsa.version:
  - 1
  - 2
...

	.end_amdgpu_metadata
